;; amdgpu-corpus repo=ROCm/rocFFT kind=compiled arch=gfx906 opt=O3
	.text
	.amdgcn_target "amdgcn-amd-amdhsa--gfx906"
	.amdhsa_code_object_version 6
	.protected	fft_rtc_fwd_len169_factors_13_13_wgs_156_tpt_13_dp_op_CI_CI_sbrc_z_xy_unaligned_dirReg ; -- Begin function fft_rtc_fwd_len169_factors_13_13_wgs_156_tpt_13_dp_op_CI_CI_sbrc_z_xy_unaligned_dirReg
	.globl	fft_rtc_fwd_len169_factors_13_13_wgs_156_tpt_13_dp_op_CI_CI_sbrc_z_xy_unaligned_dirReg
	.p2align	8
	.type	fft_rtc_fwd_len169_factors_13_13_wgs_156_tpt_13_dp_op_CI_CI_sbrc_z_xy_unaligned_dirReg,@function
fft_rtc_fwd_len169_factors_13_13_wgs_156_tpt_13_dp_op_CI_CI_sbrc_z_xy_unaligned_dirReg: ; @fft_rtc_fwd_len169_factors_13_13_wgs_156_tpt_13_dp_op_CI_CI_sbrc_z_xy_unaligned_dirReg
; %bb.0:
	s_load_dwordx8 s[8:15], s[4:5], 0x8
	s_waitcnt lgkmcnt(0)
	s_load_dwordx4 s[16:19], s[10:11], 0x8
	s_load_dwordx4 s[20:23], s[12:13], 0x0
	s_load_dword s3, s[12:13], 0x10
	s_waitcnt lgkmcnt(0)
	s_add_i32 s0, s16, -1
	s_mul_hi_u32 s0, s0, 0xaaaaaaab
	s_lshr_b32 s0, s0, 3
	s_add_i32 s1, s0, 1
	s_mul_i32 s2, s1, s18
	v_cvt_f32_u32_e32 v2, s2
	v_cvt_f32_u32_e32 v1, s1
	s_sub_i32 s7, 0, s2
	v_rcp_iflag_f32_e32 v2, v2
	v_rcp_iflag_f32_e32 v1, v1
	v_mul_f32_e32 v2, 0x4f7ffffe, v2
	v_cvt_u32_f32_e32 v2, v2
	v_mul_f32_e32 v1, 0x4f7ffffe, v1
	v_cvt_u32_f32_e32 v1, v1
	v_readfirstlane_b32 s11, v2
	s_mul_i32 s7, s7, s11
	s_mul_hi_u32 s7, s11, s7
	s_add_i32 s11, s11, s7
	s_mul_hi_u32 s7, s6, s11
	s_mul_i32 s11, s7, s2
	s_sub_i32 s11, s6, s11
	s_add_i32 s17, s7, 1
	s_sub_i32 s18, s11, s2
	s_cmp_ge_u32 s11, s2
	s_cselect_b32 s7, s17, s7
	s_cselect_b32 s11, s18, s11
	s_add_i32 s17, s7, 1
	s_cmp_ge_u32 s11, s2
	v_readfirstlane_b32 s10, v1
	s_cselect_b32 s33, s17, s7
	s_not_b32 s0, s0
	s_mul_i32 s0, s0, s10
	s_mul_i32 s2, s33, s2
	s_mul_hi_u32 s0, s10, s0
	s_sub_i32 s2, s6, s2
	s_add_i32 s10, s10, s0
	s_mul_hi_u32 s0, s2, s10
	s_mul_i32 s7, s0, s1
	s_sub_i32 s2, s2, s7
	s_add_i32 s11, s0, 1
	s_sub_i32 s7, s2, s1
	s_cmp_ge_u32 s2, s1
	s_cselect_b32 s0, s11, s0
	s_cselect_b32 s2, s7, s2
	s_add_i32 s7, s0, 1
	s_cmp_ge_u32 s2, s1
	s_cselect_b32 s52, s7, s0
	s_mul_hi_u32 s0, s6, s10
	s_mul_i32 s0, s0, s1
	s_sub_i32 s0, s6, s0
	s_sub_i32 s2, s0, s1
	s_cmp_ge_u32 s0, s1
	s_cselect_b32 s0, s2, s0
	s_sub_i32 s2, s0, s1
	s_cmp_ge_u32 s0, s1
	s_cselect_b32 s53, s2, s0
	s_mul_i32 s53, s53, 12
	s_mul_i32 s0, s52, s3
	;; [unrolled: 1-line block ×3, first 2 shown]
	s_add_i32 s17, s1, s0
	s_lshl_b64 s[0:1], s[8:9], 3
	s_add_u32 s2, s12, s0
	s_addc_u32 s3, s13, s1
	s_load_dwordx2 s[8:9], s[2:3], 0x0
	s_load_dwordx2 s[10:11], s[4:5], 0x58
	;; [unrolled: 1-line block ×3, first 2 shown]
	s_waitcnt lgkmcnt(0)
	s_mul_i32 s2, s9, s33
	s_mul_hi_u32 s3, s8, s33
	s_add_i32 s3, s3, s2
	s_mul_i32 s2, s8, s33
	s_add_u32 s12, s2, s17
	s_addc_u32 s13, s3, 0
	s_add_u32 s18, s14, s0
	s_addc_u32 s19, s15, s1
	s_load_dwordx4 s[0:3], s[14:15], 0x0
	s_load_dwordx2 s[8:9], s[18:19], 0x0
	s_waitcnt lgkmcnt(0)
	s_add_i32 s3, s53, 12
	s_cmp_le_u32 s3, s16
	s_cselect_b64 s[46:47], -1, 0
	s_mov_b64 s[14:15], -1
	s_and_b64 vcc, exec, s[46:47]
	s_cbranch_vccnz .LBB0_4
; %bb.1:
	s_lshl_b64 s[14:15], s[12:13], 4
	s_add_u32 s3, s10, s14
	s_addc_u32 s17, s11, s15
	s_mov_b64 s[14:15], 0
	s_mov_b32 s7, 0xc1e5
	v_mov_b32_e32 v2, 0
	v_mov_b32_e32 v3, s17
	s_movk_i32 s17, 0x7eb
	v_mov_b32_e32 v4, v0
.LBB0_2:                                ; =>This Inner Loop Header: Depth=1
	v_mul_u32_u24_sdwa v1, v4, s7 dst_sel:DWORD dst_unused:UNUSED_PAD src0_sel:WORD_0 src1_sel:DWORD
	v_lshrrev_b32_e32 v11, 23, v1
	v_mul_lo_u16_e32 v5, 0xa9, v11
	v_sub_u16_e32 v12, v4, v5
	v_mul_lo_u32 v1, s22, v11
	v_mad_u64_u32 v[5:6], s[18:19], s20, v12, 0
	v_add_u32_e32 v4, 0x9c, v4
	v_lshlrev_b64 v[7:8], 4, v[1:2]
	v_mov_b32_e32 v1, v6
	v_mad_u64_u32 v[9:10], s[18:19], s21, v12, v[1:2]
	v_mov_b32_e32 v6, v9
	v_lshlrev_b64 v[5:6], 4, v[5:6]
	v_add_co_u32_e32 v1, vcc, s3, v5
	v_addc_co_u32_e32 v6, vcc, v3, v6, vcc
	v_add_co_u32_e32 v5, vcc, v1, v7
	v_addc_co_u32_e32 v6, vcc, v6, v8, vcc
	global_load_dwordx4 v[5:8], v[5:6], off
	v_mad_legacy_u16 v1, v12, 12, v11
	v_cmp_lt_u32_e32 vcc, s17, v4
	v_lshl_add_u32 v1, v1, 4, 0
	s_or_b64 s[14:15], vcc, s[14:15]
	s_waitcnt vmcnt(0)
	ds_write_b128 v1, v[5:8]
	s_andn2_b64 exec, exec, s[14:15]
	s_cbranch_execnz .LBB0_2
; %bb.3:
	s_or_b64 exec, exec, s[14:15]
	s_mov_b64 s[14:15], 0
.LBB0_4:
	s_and_b64 vcc, exec, s[14:15]
	s_cbranch_vccz .LBB0_6
; %bb.5:
	s_movk_i32 s3, 0x184
	v_mul_u32_u24_sdwa v1, v0, s3 dst_sel:DWORD dst_unused:UNUSED_PAD src0_sel:WORD_0 src1_sel:DWORD
	v_lshrrev_b32_e32 v55, 16, v1
	v_mul_lo_u16_e32 v1, 0xa9, v55
	v_sub_u16_e32 v56, v0, v1
	v_mad_u64_u32 v[1:2], s[14:15], s20, v56, 0
	s_lshl_b64 s[12:13], s[12:13], 4
	v_mul_lo_u32 v49, s22, v55
	v_mad_u64_u32 v[2:3], s[14:15], s21, v56, v[2:3]
	s_add_u32 s3, s10, s12
	s_addc_u32 s7, s11, s13
	v_lshlrev_b64 v[1:2], 4, v[1:2]
	v_mov_b32_e32 v50, 0
	v_mov_b32_e32 v3, s7
	v_add_co_u32_e32 v4, vcc, s3, v1
	v_addc_co_u32_e32 v3, vcc, v3, v2, vcc
	v_lshlrev_b64 v[1:2], 4, v[49:50]
	v_add_co_u32_e32 v9, vcc, v4, v1
	v_add_u16_e32 v1, 0x9c, v0
	v_addc_co_u32_e32 v10, vcc, v3, v2, vcc
	v_mul_u32_u24_e32 v2, 0x184, v1
	v_lshrrev_b32_e32 v57, 16, v2
	v_mul_lo_u16_e32 v2, 0xa9, v57
	v_sub_u16_e32 v60, v1, v2
	v_add_u16_e32 v3, 0x138, v0
	v_mad_u64_u32 v[1:2], s[10:11], s20, v60, 0
	v_mul_u32_u24_e32 v5, 0x184, v3
	v_lshrrev_b32_e32 v58, 16, v5
	v_mul_lo_u16_e32 v5, 0xa9, v58
	v_sub_u16_e32 v61, v3, v5
	v_mad_u64_u32 v[2:3], s[10:11], s21, v60, v[2:3]
	v_add_u16_e32 v4, 0x1d4, v0
	v_mul_u32_u24_e32 v6, 0x184, v4
	v_mul_lo_u32 v49, s22, v57
	v_lshrrev_b32_e32 v59, 16, v6
	v_lshlrev_b64 v[1:2], 4, v[1:2]
	v_mul_lo_u16_e32 v6, 0xa9, v59
	v_mad_u64_u32 v[11:12], s[10:11], s20, v61, 0
	v_sub_u16_e32 v62, v4, v6
	v_mov_b32_e32 v3, s7
	v_add_co_u32_e32 v4, vcc, s3, v1
	v_addc_co_u32_e32 v3, vcc, v3, v2, vcc
	v_lshlrev_b64 v[1:2], 4, v[49:50]
	v_mad_u64_u32 v[15:16], s[10:11], s20, v62, 0
	v_add_co_u32_e32 v13, vcc, v4, v1
	v_mov_b32_e32 v1, v12
	v_mad_u64_u32 v[17:18], s[10:11], s21, v61, v[1:2]
	v_mov_b32_e32 v1, v16
	v_mad_u64_u32 v[18:19], s[10:11], s21, v62, v[1:2]
	v_mov_b32_e32 v12, v17
	v_addc_co_u32_e32 v14, vcc, v3, v2, vcc
	global_load_dwordx4 v[1:4], v[9:10], off
	global_load_dwordx4 v[5:8], v[13:14], off
	v_lshlrev_b64 v[9:10], 4, v[11:12]
	v_mov_b32_e32 v16, v18
	v_mov_b32_e32 v13, s7
	v_lshlrev_b64 v[11:12], 4, v[15:16]
	v_add_co_u32_e32 v15, vcc, s3, v9
	v_addc_co_u32_e32 v13, vcc, v13, v10, vcc
	v_mov_b32_e32 v14, s7
	v_add_co_u32_e32 v16, vcc, s3, v11
	v_add_u16_e32 v11, 0x270, v0
	v_mul_lo_u32 v49, s22, v58
	v_addc_co_u32_e32 v12, vcc, v14, v12, vcc
	v_mul_u32_u24_e32 v14, 0x184, v11
	v_lshrrev_b32_e32 v63, 16, v14
	v_mul_lo_u16_e32 v14, 0xa9, v63
	v_sub_u16_e32 v64, v11, v14
	v_lshlrev_b64 v[9:10], 4, v[49:50]
	v_mul_lo_u32 v49, s22, v59
	v_mad_u64_u32 v[17:18], s[10:11], s20, v64, 0
	v_add_co_u32_e32 v19, vcc, v15, v9
	v_addc_co_u32_e32 v20, vcc, v13, v10, vcc
	v_lshlrev_b64 v[9:10], 4, v[49:50]
	v_mov_b32_e32 v11, v18
	v_mad_u64_u32 v[21:22], s[10:11], s21, v64, v[11:12]
	v_add_co_u32_e32 v22, vcc, v16, v9
	v_addc_co_u32_e32 v23, vcc, v12, v10, vcc
	global_load_dwordx4 v[9:12], v[19:20], off
	global_load_dwordx4 v[13:16], v[22:23], off
	v_add_u16_e32 v19, 0x30c, v0
	v_mul_u32_u24_e32 v20, 0xc1f, v19
	v_lshrrev_b32_e32 v65, 19, v20
	v_mul_lo_u16_e32 v20, 0xa9, v65
	v_sub_u16_e32 v66, v19, v20
	v_mov_b32_e32 v18, v21
	v_mad_u64_u32 v[19:20], s[10:11], s20, v66, 0
	v_mul_lo_u32 v49, s22, v63
	v_lshlrev_b64 v[17:18], 4, v[17:18]
	v_mov_b32_e32 v21, s7
	v_add_co_u32_e32 v22, vcc, s3, v17
	v_addc_co_u32_e32 v23, vcc, v21, v18, vcc
	v_mad_u64_u32 v[20:21], s[10:11], s21, v66, v[20:21]
	v_lshlrev_b64 v[17:18], 4, v[49:50]
	v_mul_lo_u32 v49, s22, v65
	v_add_co_u32_e32 v25, vcc, v22, v17
	v_addc_co_u32_e32 v26, vcc, v23, v18, vcc
	v_lshlrev_b64 v[17:18], 4, v[19:20]
	v_add_u16_e32 v19, 0x3a8, v0
	v_mul_u32_u24_e32 v20, 0xc1f, v19
	v_lshrrev_b32_e32 v67, 19, v20
	v_mul_lo_u16_e32 v20, 0xa9, v67
	v_sub_u16_e32 v68, v19, v20
	v_mad_u64_u32 v[19:20], s[10:11], s20, v68, 0
	v_mov_b32_e32 v21, s7
	v_add_co_u32_e32 v22, vcc, s3, v17
	v_addc_co_u32_e32 v23, vcc, v21, v18, vcc
	v_mad_u64_u32 v[20:21], s[10:11], s21, v68, v[20:21]
	v_lshlrev_b64 v[17:18], 4, v[49:50]
	v_mul_lo_u32 v49, s22, v67
	v_add_co_u32_e32 v27, vcc, v22, v17
	v_addc_co_u32_e32 v28, vcc, v23, v18, vcc
	v_lshlrev_b64 v[17:18], 4, v[19:20]
	v_add_u16_e32 v20, 0x444, v0
	v_mul_u32_u24_e32 v21, 0xc1f, v20
	v_lshrrev_b32_e32 v69, 19, v21
	v_mul_lo_u16_e32 v21, 0xa9, v69
	v_sub_u16_e32 v70, v20, v21
	v_mad_u64_u32 v[29:30], s[10:11], s20, v70, 0
	v_mov_b32_e32 v19, s7
	v_add_co_u32_e32 v20, vcc, s3, v17
	v_addc_co_u32_e32 v21, vcc, v19, v18, vcc
	v_mov_b32_e32 v19, v30
	v_lshlrev_b64 v[17:18], 4, v[49:50]
	v_mad_u64_u32 v[30:31], s[10:11], s21, v70, v[19:20]
	v_add_co_u32_e32 v33, vcc, v20, v17
	v_addc_co_u32_e32 v34, vcc, v21, v18, vcc
	global_load_dwordx4 v[17:20], v[25:26], off
	global_load_dwordx4 v[21:24], v[27:28], off
	v_add_u16_e32 v28, 0x4e0, v0
	v_lshlrev_b64 v[25:26], 4, v[29:30]
	v_mul_u32_u24_e32 v29, 0xc1f, v28
	v_lshrrev_b32_e32 v71, 19, v29
	v_mul_lo_u16_e32 v29, 0xa9, v71
	v_sub_u16_e32 v72, v28, v29
	v_mad_u64_u32 v[35:36], s[10:11], s20, v72, 0
	v_mul_lo_u32 v49, s22, v69
	v_mov_b32_e32 v27, s7
	v_add_co_u32_e32 v28, vcc, s3, v25
	v_addc_co_u32_e32 v29, vcc, v27, v26, vcc
	v_mov_b32_e32 v27, v36
	v_mad_u64_u32 v[36:37], s[10:11], s21, v72, v[27:28]
	v_lshlrev_b64 v[25:26], 4, v[49:50]
	v_mul_lo_u32 v49, s22, v71
	v_add_co_u32_e32 v37, vcc, v28, v25
	v_addc_co_u32_e32 v38, vcc, v29, v26, vcc
	global_load_dwordx4 v[25:28], v[33:34], off
	global_load_dwordx4 v[29:32], v[37:38], off
	v_lshlrev_b64 v[33:34], 4, v[35:36]
	v_add_u16_e32 v35, 0x57c, v0
	v_mul_u32_u24_e32 v36, 0xc1f, v35
	v_lshrrev_b32_e32 v73, 19, v36
	v_mul_lo_u16_e32 v36, 0xa9, v73
	v_sub_u16_e32 v74, v35, v36
	v_mad_u64_u32 v[35:36], s[10:11], s20, v74, 0
	v_mov_b32_e32 v37, s7
	v_add_co_u32_e32 v38, vcc, s3, v33
	v_addc_co_u32_e32 v39, vcc, v37, v34, vcc
	v_mad_u64_u32 v[36:37], s[10:11], s21, v74, v[36:37]
	v_lshlrev_b64 v[33:34], 4, v[49:50]
	v_mul_lo_u32 v49, s22, v73
	v_add_co_u32_e32 v41, vcc, v38, v33
	v_addc_co_u32_e32 v42, vcc, v39, v34, vcc
	v_lshlrev_b64 v[33:34], 4, v[35:36]
	v_add_u16_e32 v36, 0x618, v0
	v_mul_u32_u24_e32 v37, 0xc1f, v36
	v_lshrrev_b32_e32 v75, 19, v37
	v_mul_lo_u16_e32 v37, 0xa9, v75
	v_sub_u16_e32 v76, v36, v37
	v_mad_u64_u32 v[43:44], s[10:11], s20, v76, 0
	v_mov_b32_e32 v35, s7
	v_add_co_u32_e32 v36, vcc, s3, v33
	v_addc_co_u32_e32 v37, vcc, v35, v34, vcc
	v_mov_b32_e32 v35, v44
	v_mad_u64_u32 v[44:45], s[10:11], s21, v76, v[35:36]
	v_lshlrev_b64 v[33:34], 4, v[49:50]
	v_mul_lo_u32 v49, s22, v75
	v_add_co_u32_e32 v45, vcc, v36, v33
	v_addc_co_u32_e32 v46, vcc, v37, v34, vcc
	global_load_dwordx4 v[33:36], v[41:42], off
	global_load_dwordx4 v[37:40], v[45:46], off
	v_lshlrev_b64 v[41:42], 4, v[43:44]
	v_add_u16_e32 v43, 0x6b4, v0
	v_mul_u32_u24_e32 v44, 0xc1f, v43
	v_lshrrev_b32_e32 v77, 19, v44
	v_mul_lo_u16_e32 v44, 0xa9, v77
	v_sub_u16_e32 v78, v43, v44
	v_mad_u64_u32 v[43:44], s[10:11], s20, v78, 0
	v_mov_b32_e32 v45, s7
	v_add_co_u32_e32 v46, vcc, s3, v41
	v_addc_co_u32_e32 v47, vcc, v45, v42, vcc
	v_mad_u64_u32 v[44:45], s[10:11], s21, v78, v[44:45]
	v_lshlrev_b64 v[41:42], 4, v[49:50]
	v_mul_lo_u32 v49, s22, v77
	v_add_co_u32_e32 v51, vcc, v46, v41
	v_addc_co_u32_e32 v52, vcc, v47, v42, vcc
	v_lshlrev_b64 v[41:42], 4, v[43:44]
	v_add_u16_e32 v43, 0x750, v0
	v_mul_u32_u24_e32 v44, 0xc1f, v43
	v_lshrrev_b32_e32 v79, 19, v44
	v_mul_lo_u16_e32 v44, 0xa9, v79
	v_sub_u16_e32 v80, v43, v44
	v_mad_u64_u32 v[43:44], s[10:11], s20, v80, 0
	v_mov_b32_e32 v45, s7
	v_add_co_u32_e32 v46, vcc, s3, v41
	v_addc_co_u32_e32 v47, vcc, v45, v42, vcc
	v_mad_u64_u32 v[44:45], s[10:11], s21, v80, v[44:45]
	v_lshlrev_b64 v[41:42], 4, v[49:50]
	v_mul_lo_u32 v49, s22, v79
	v_add_co_u32_e32 v53, vcc, v46, v41
	v_addc_co_u32_e32 v54, vcc, v47, v42, vcc
	v_lshlrev_b64 v[41:42], 4, v[43:44]
	v_mov_b32_e32 v43, s7
	v_add_co_u32_e32 v81, vcc, s3, v41
	v_lshlrev_b64 v[49:50], 4, v[49:50]
	v_addc_co_u32_e32 v82, vcc, v43, v42, vcc
	global_load_dwordx4 v[41:44], v[51:52], off
	global_load_dwordx4 v[45:48], v[53:54], off
	v_add_co_u32_e32 v49, vcc, v81, v49
	v_addc_co_u32_e32 v50, vcc, v82, v50, vcc
	global_load_dwordx4 v[49:52], v[49:50], off
	v_mul_lo_u16_e32 v53, 12, v56
	v_or_b32_e32 v53, v53, v55
	v_and_b32_e32 v53, 0xffff, v53
	v_lshl_add_u32 v53, v53, 4, 0
	s_waitcnt vmcnt(12)
	ds_write_b128 v53, v[1:4]
	v_mul_lo_u16_e32 v1, 12, v60
	v_or_b32_e32 v1, v1, v57
	v_and_b32_e32 v1, 0xffff, v1
	v_lshl_add_u32 v1, v1, 4, 0
	s_waitcnt vmcnt(11)
	ds_write_b128 v1, v[5:8]
	v_mad_legacy_u16 v1, v61, 12, v58
	v_lshl_add_u32 v1, v1, 4, 0
	s_waitcnt vmcnt(10)
	ds_write_b128 v1, v[9:12]
	v_mad_legacy_u16 v1, v62, 12, v59
	;; [unrolled: 4-line block ×11, first 2 shown]
	v_lshl_add_u32 v1, v1, 4, 0
	s_waitcnt vmcnt(0)
	ds_write_b128 v1, v[49:52]
.LBB0_6:
	s_movk_i32 s3, 0x1556
	v_mul_u32_u24_sdwa v1, v0, s3 dst_sel:DWORD dst_unused:UNUSED_PAD src0_sel:WORD_0 src1_sel:DWORD
	s_mov_b32 s3, 0x15555556
	v_mul_hi_u32 v51, v0, s3
	v_mov_b32_e32 v2, 12
	v_mul_lo_u16_sdwa v1, v1, v2 dst_sel:DWORD dst_unused:UNUSED_PAD src0_sel:WORD_1 src1_sel:DWORD
	v_sub_u16_e32 v49, v0, v1
	v_mul_u32_u24_e32 v1, 0xc0, v51
	v_lshlrev_b32_e32 v2, 4, v49
	v_add3_u32 v50, 0, v1, v2
	s_waitcnt lgkmcnt(0)
	s_barrier
	ds_read_b128 v[1:4], v50
	ds_read_b128 v[5:8], v50 offset:2496
	ds_read_b128 v[9:12], v50 offset:4992
	;; [unrolled: 1-line block ×6, first 2 shown]
	s_waitcnt lgkmcnt(5)
	v_add_f64 v[17:18], v[1:2], v[5:6]
	v_add_f64 v[19:20], v[3:4], v[7:8]
	ds_read_b128 v[25:28], v50 offset:17472
	ds_read_b128 v[41:44], v50 offset:19968
	;; [unrolled: 1-line block ×6, first 2 shown]
	s_mov_b32 s24, 0x42a4c3d2
	s_mov_b32 s25, 0xbfea55e2
	;; [unrolled: 1-line block ×4, first 2 shown]
	s_waitcnt lgkmcnt(10)
	v_add_f64 v[17:18], v[17:18], v[9:10]
	v_add_f64 v[19:20], v[19:20], v[11:12]
	s_waitcnt lgkmcnt(0)
	v_add_f64 v[70:71], v[7:8], v[66:67]
	v_add_f64 v[72:73], v[5:6], -v[64:65]
	s_mov_b32 s22, 0x66966769
	s_mov_b32 s14, 0x2ef20147
	s_mov_b32 s10, 0x24c2f84
	s_mov_b32 s28, 0x4bc48dbf
	v_add_f64 v[17:18], v[17:18], v[13:14]
	v_add_f64 v[19:20], v[19:20], v[15:16]
	s_mov_b32 s37, 0xbfddbe06
	s_mov_b32 s27, 0x3fe22d96
	s_mov_b32 s23, 0xbfefc445
	s_mov_b32 s15, 0xbfedeba7
	s_mov_b32 s11, 0xbfe5384d
	s_mov_b32 s29, 0xbfcea1e5
	v_add_f64 v[17:18], v[17:18], v[37:38]
	v_add_f64 v[19:20], v[19:20], v[39:40]
	s_mov_b32 s18, 0xe00740e9
	s_mov_b32 s20, 0xebaa3ed8
	;; [unrolled: 8-line block ×3, first 2 shown]
	s_mov_b32 s31, 0xbfe7f3cc
	s_mov_b32 s35, 0xbfef11f4
	v_mul_f64 v[80:81], v[72:73], s[36:37]
	v_mul_f64 v[84:85], v[72:73], s[24:25]
	v_add_f64 v[29:30], v[17:18], v[21:22]
	v_add_f64 v[35:36], v[19:20], v[23:24]
	;; [unrolled: 1-line block ×4, first 2 shown]
	v_add_f64 v[21:22], v[21:22], -v[25:26]
	v_mul_f64 v[88:89], v[72:73], s[14:15]
	v_fma_f64 v[86:87], v[70:71], s[18:19], v[80:81]
	v_mul_f64 v[90:91], v[72:73], s[10:11]
	v_add_f64 v[45:46], v[29:30], v[25:26]
	v_add_f64 v[47:48], v[35:36], v[27:28]
	v_add_f64 v[27:28], v[23:24], -v[27:28]
	v_add_f64 v[23:24], v[31:32], v[41:42]
	v_add_f64 v[25:26], v[33:34], v[43:44]
	v_add_f64 v[31:32], v[31:32], -v[41:42]
	v_add_f64 v[35:36], v[33:34], -v[43:44]
	v_add_f64 v[29:30], v[37:38], v[52:53]
	v_add_f64 v[68:69], v[45:46], v[41:42]
	;; [unrolled: 1-line block ×4, first 2 shown]
	v_add_f64 v[41:42], v[37:38], -v[52:53]
	v_add_f64 v[43:44], v[39:40], -v[54:55]
	v_add_f64 v[37:38], v[13:14], v[56:57]
	v_add_f64 v[45:46], v[13:14], -v[56:57]
	v_add_f64 v[39:40], v[15:16], v[58:59]
	v_add_f64 v[52:53], v[68:69], v[52:53]
	;; [unrolled: 1-line block ×3, first 2 shown]
	v_add_f64 v[68:69], v[7:8], -v[66:67]
	v_add_f64 v[47:48], v[15:16], -v[58:59]
	v_add_f64 v[15:16], v[11:12], v[62:63]
	v_add_f64 v[11:12], v[11:12], -v[62:63]
	v_add_f64 v[13:14], v[9:10], v[60:61]
	;; [unrolled: 2-line block ×3, first 2 shown]
	v_add_f64 v[54:55], v[54:55], v[58:59]
	v_add_f64 v[56:57], v[5:6], v[64:65]
	v_mul_f64 v[7:8], v[68:69], s[24:25]
	v_mul_f64 v[58:59], v[68:69], s[36:37]
	;; [unrolled: 1-line block ×3, first 2 shown]
	v_fma_f64 v[92:93], v[70:71], s[26:27], v[84:85]
	v_fma_f64 v[80:81], v[70:71], s[18:19], -v[80:81]
	v_add_f64 v[5:6], v[52:53], v[60:61]
	v_add_f64 v[52:53], v[54:55], v[62:63]
	v_mul_f64 v[54:55], v[68:69], s[14:15]
	v_fma_f64 v[62:63], v[56:57], s[26:27], -v[7:8]
	v_fma_f64 v[76:77], v[56:57], s[26:27], v[7:8]
	v_fma_f64 v[60:61], v[56:57], s[18:19], -v[58:59]
	v_fma_f64 v[58:59], v[56:57], s[18:19], v[58:59]
	v_fma_f64 v[78:79], v[56:57], s[20:21], -v[74:75]
	v_add_f64 v[5:6], v[5:6], v[64:65]
	v_add_f64 v[7:8], v[52:53], v[66:67]
	v_mul_f64 v[64:65], v[68:69], s[10:11]
	v_mul_f64 v[66:67], v[68:69], s[28:29]
	v_fma_f64 v[52:53], v[56:57], s[20:21], v[74:75]
	v_fma_f64 v[68:69], v[56:57], s[12:13], -v[54:55]
	v_fma_f64 v[54:55], v[56:57], s[12:13], v[54:55]
	v_fma_f64 v[84:85], v[70:71], s[26:27], -v[84:85]
	;; [unrolled: 2-line block ×3, first 2 shown]
	v_fma_f64 v[74:75], v[56:57], s[30:31], -v[64:65]
	v_fma_f64 v[64:65], v[56:57], s[30:31], v[64:65]
	v_fma_f64 v[82:83], v[56:57], s[34:35], -v[66:67]
	v_fma_f64 v[56:57], v[56:57], s[34:35], v[66:67]
	v_mul_f64 v[66:67], v[72:73], s[22:23]
	v_mul_f64 v[72:73], v[72:73], s[28:29]
	v_fma_f64 v[98:99], v[70:71], s[30:31], v[90:91]
	v_fma_f64 v[90:91], v[70:71], s[30:31], -v[90:91]
	v_mul_f64 v[102:103], v[9:10], s[24:25]
	v_add_f64 v[60:61], v[1:2], v[60:61]
	v_add_f64 v[104:105], v[1:2], v[52:53]
	;; [unrolled: 1-line block ×3, first 2 shown]
	v_fma_f64 v[94:95], v[70:71], s[20:21], v[66:67]
	v_fma_f64 v[66:67], v[70:71], s[20:21], -v[66:67]
	v_fma_f64 v[100:101], v[70:71], s[34:35], v[72:73]
	v_fma_f64 v[70:71], v[70:71], s[34:35], -v[72:73]
	v_add_f64 v[72:73], v[3:4], v[86:87]
	v_add_f64 v[86:87], v[3:4], v[92:93]
	v_fma_f64 v[54:55], v[15:16], s[26:27], v[102:103]
	v_mul_f64 v[108:109], v[47:48], s[22:23]
	v_add_f64 v[92:93], v[3:4], v[94:95]
	v_mul_f64 v[94:95], v[11:12], s[24:25]
	v_mul_f64 v[110:111], v[45:46], s[22:23]
	v_add_f64 v[58:59], v[1:2], v[58:59]
	v_add_f64 v[80:81], v[3:4], v[80:81]
	;; [unrolled: 1-line block ×5, first 2 shown]
	v_mul_f64 v[72:73], v[43:44], s[14:15]
	v_fma_f64 v[52:53], v[13:14], s[26:27], -v[94:95]
	v_fma_f64 v[64:65], v[39:40], s[20:21], v[110:111]
	v_mul_f64 v[74:75], v[41:42], s[14:15]
	v_fma_f64 v[94:95], v[13:14], s[26:27], v[94:95]
	v_fma_f64 v[102:103], v[15:16], s[26:27], -v[102:103]
	v_mul_f64 v[116:117], v[35:36], s[10:11]
	v_mul_f64 v[118:119], v[31:32], s[10:11]
	v_add_f64 v[62:63], v[1:2], v[62:63]
	v_add_f64 v[52:53], v[52:53], v[60:61]
	v_fma_f64 v[60:61], v[37:38], s[20:21], -v[108:109]
	v_add_f64 v[54:55], v[64:65], v[54:55]
	v_fma_f64 v[64:65], v[33:34], s[12:13], v[74:75]
	v_add_f64 v[58:59], v[94:95], v[58:59]
	v_add_f64 v[80:81], v[102:103], v[80:81]
	v_fma_f64 v[94:95], v[37:38], s[20:21], v[108:109]
	v_fma_f64 v[102:103], v[39:40], s[20:21], -v[110:111]
	v_add_f64 v[76:77], v[1:2], v[76:77]
	v_add_f64 v[52:53], v[60:61], v[52:53]
	v_fma_f64 v[60:61], v[29:30], s[12:13], -v[72:73]
	v_add_f64 v[84:85], v[3:4], v[84:85]
	v_add_f64 v[78:79], v[1:2], v[78:79]
	;; [unrolled: 1-line block ×12, first 2 shown]
	v_fma_f64 v[60:61], v[23:24], s[30:31], -v[116:117]
	v_fma_f64 v[64:65], v[25:26], s[30:31], v[118:119]
	v_add_f64 v[108:109], v[1:2], v[56:57]
	v_add_f64 v[110:111], v[3:4], v[70:71]
	;; [unrolled: 1-line block ×4, first 2 shown]
	v_fma_f64 v[56:57], v[29:30], s[12:13], v[72:73]
	v_fma_f64 v[58:59], v[33:34], s[12:13], -v[74:75]
	v_mul_f64 v[70:71], v[11:12], s[14:15]
	v_mul_f64 v[72:73], v[9:10], s[14:15]
	v_add_f64 v[52:53], v[60:61], v[52:53]
	v_add_f64 v[54:55], v[64:65], v[54:55]
	v_mul_f64 v[60:61], v[27:28], s[28:29]
	v_mul_f64 v[64:65], v[21:22], s[28:29]
	v_add_f64 v[1:2], v[56:57], v[1:2]
	v_add_f64 v[3:4], v[58:59], v[3:4]
	v_fma_f64 v[56:57], v[23:24], s[30:31], v[116:117]
	v_fma_f64 v[58:59], v[25:26], s[30:31], -v[118:119]
	v_fma_f64 v[94:95], v[13:14], s[12:13], -v[70:71]
	v_fma_f64 v[102:103], v[15:16], s[12:13], v[72:73]
	v_mul_f64 v[116:117], v[47:48], s[28:29]
	v_mul_f64 v[118:119], v[45:46], s[28:29]
	s_mov_b32 s39, 0x3fe5384d
	s_mov_b32 s38, s10
	v_fma_f64 v[74:75], v[19:20], s[34:35], -v[60:61]
	v_fma_f64 v[80:81], v[17:18], s[34:35], v[64:65]
	v_add_f64 v[1:2], v[56:57], v[1:2]
	v_add_f64 v[3:4], v[58:59], v[3:4]
	v_fma_f64 v[56:57], v[19:20], s[34:35], v[60:61]
	v_fma_f64 v[58:59], v[17:18], s[34:35], -v[64:65]
	v_add_f64 v[60:61], v[94:95], v[62:63]
	v_add_f64 v[62:63], v[102:103], v[86:87]
	v_fma_f64 v[64:65], v[37:38], s[34:35], -v[116:117]
	v_fma_f64 v[86:87], v[39:40], s[34:35], v[118:119]
	v_mul_f64 v[94:95], v[43:44], s[38:39]
	v_mul_f64 v[102:103], v[41:42], s[38:39]
	s_mov_b32 s43, 0x3fefc445
	s_mov_b32 s42, s22
	v_add_f64 v[52:53], v[74:75], v[52:53]
	v_add_f64 v[1:2], v[56:57], v[1:2]
	;; [unrolled: 1-line block ×5, first 2 shown]
	v_fma_f64 v[60:61], v[29:30], s[30:31], -v[94:95]
	v_fma_f64 v[62:63], v[33:34], s[30:31], v[102:103]
	v_fma_f64 v[64:65], v[13:14], s[12:13], v[70:71]
	v_fma_f64 v[70:71], v[15:16], s[12:13], -v[72:73]
	v_mul_f64 v[72:73], v[35:36], s[42:43]
	v_mul_f64 v[74:75], v[31:32], s[42:43]
	v_add_f64 v[54:55], v[80:81], v[54:55]
	s_mov_b32 s41, 0x3fddbe06
	v_add_f64 v[56:57], v[60:61], v[56:57]
	v_add_f64 v[58:59], v[62:63], v[58:59]
	;; [unrolled: 1-line block ×4, first 2 shown]
	v_fma_f64 v[64:65], v[37:38], s[34:35], v[116:117]
	v_fma_f64 v[70:71], v[39:40], s[34:35], -v[118:119]
	v_fma_f64 v[76:77], v[23:24], s[20:21], -v[72:73]
	v_fma_f64 v[80:81], v[25:26], s[20:21], v[74:75]
	s_mov_b32 s40, s36
	s_mov_b32 s45, 0x3fedeba7
	;; [unrolled: 1-line block ×3, first 2 shown]
	v_mul_f64 v[84:85], v[27:28], s[40:41]
	v_add_f64 v[60:61], v[64:65], v[60:61]
	v_add_f64 v[62:63], v[70:71], v[62:63]
	v_fma_f64 v[64:65], v[29:30], s[30:31], v[94:95]
	v_fma_f64 v[70:71], v[33:34], s[30:31], -v[102:103]
	v_add_f64 v[56:57], v[76:77], v[56:57]
	v_add_f64 v[58:59], v[80:81], v[58:59]
	v_mul_f64 v[76:77], v[11:12], s[28:29]
	v_mul_f64 v[80:81], v[9:10], s[28:29]
	;; [unrolled: 1-line block ×4, first 2 shown]
	v_add_f64 v[60:61], v[64:65], v[60:61]
	v_add_f64 v[62:63], v[70:71], v[62:63]
	v_fma_f64 v[64:65], v[23:24], s[20:21], v[72:73]
	v_fma_f64 v[70:71], v[25:26], s[20:21], -v[74:75]
	v_fma_f64 v[72:73], v[13:14], s[34:35], -v[76:77]
	v_fma_f64 v[74:75], v[15:16], s[34:35], v[80:81]
	v_mul_f64 v[118:119], v[45:46], s[44:45]
	v_fma_f64 v[94:95], v[19:20], s[18:19], -v[84:85]
	v_fma_f64 v[102:103], v[17:18], s[18:19], v[86:87]
	v_fma_f64 v[76:77], v[13:14], s[34:35], v[76:77]
	v_add_f64 v[60:61], v[64:65], v[60:61]
	v_add_f64 v[62:63], v[70:71], v[62:63]
	;; [unrolled: 1-line block ×4, first 2 shown]
	v_fma_f64 v[72:73], v[37:38], s[12:13], -v[116:117]
	v_fma_f64 v[74:75], v[39:40], s[12:13], v[118:119]
	v_mul_f64 v[78:79], v[43:44], s[40:41]
	v_mul_f64 v[92:93], v[41:42], s[40:41]
	v_fma_f64 v[80:81], v[15:16], s[34:35], -v[80:81]
	v_add_f64 v[56:57], v[94:95], v[56:57]
	v_add_f64 v[58:59], v[102:103], v[58:59]
	v_fma_f64 v[84:85], v[19:20], s[18:19], v[84:85]
	v_fma_f64 v[86:87], v[17:18], s[18:19], -v[86:87]
	v_add_f64 v[64:65], v[72:73], v[64:65]
	v_add_f64 v[70:71], v[74:75], v[70:71]
	v_fma_f64 v[72:73], v[29:30], s[18:19], -v[78:79]
	v_fma_f64 v[74:75], v[33:34], s[18:19], v[92:93]
	v_mul_f64 v[94:95], v[35:36], s[24:25]
	v_mul_f64 v[102:103], v[31:32], s[24:25]
	v_add_f64 v[76:77], v[76:77], v[104:105]
	v_add_f64 v[66:67], v[80:81], v[66:67]
	v_fma_f64 v[80:81], v[37:38], s[12:13], v[116:117]
	v_fma_f64 v[104:105], v[39:40], s[12:13], -v[118:119]
	v_add_f64 v[64:65], v[72:73], v[64:65]
	v_add_f64 v[70:71], v[74:75], v[70:71]
	v_fma_f64 v[72:73], v[23:24], s[26:27], -v[94:95]
	v_fma_f64 v[74:75], v[25:26], s[26:27], v[102:103]
	v_add_f64 v[60:61], v[84:85], v[60:61]
	v_add_f64 v[62:63], v[86:87], v[62:63]
	;; [unrolled: 1-line block ×4, first 2 shown]
	v_fma_f64 v[78:79], v[29:30], s[18:19], v[78:79]
	v_fma_f64 v[80:81], v[33:34], s[18:19], -v[92:93]
	v_mul_f64 v[84:85], v[11:12], s[38:39]
	v_mul_f64 v[86:87], v[9:10], s[38:39]
	v_add_f64 v[64:65], v[72:73], v[64:65]
	v_add_f64 v[70:71], v[74:75], v[70:71]
	v_mul_f64 v[72:73], v[27:28], s[10:11]
	v_mul_f64 v[74:75], v[21:22], s[10:11]
	v_add_f64 v[76:77], v[78:79], v[76:77]
	v_add_f64 v[66:67], v[80:81], v[66:67]
	v_fma_f64 v[78:79], v[23:24], s[26:27], v[94:95]
	v_fma_f64 v[80:81], v[25:26], s[26:27], -v[102:103]
	v_fma_f64 v[102:103], v[13:14], s[30:31], -v[84:85]
	v_fma_f64 v[104:105], v[15:16], s[30:31], v[86:87]
	v_mul_f64 v[116:117], v[47:48], s[40:41]
	v_mul_f64 v[118:119], v[45:46], s[40:41]
	v_fma_f64 v[92:93], v[19:20], s[30:31], -v[72:73]
	v_fma_f64 v[94:95], v[17:18], s[30:31], v[74:75]
	v_add_f64 v[76:77], v[78:79], v[76:77]
	v_add_f64 v[78:79], v[80:81], v[66:67]
	v_fma_f64 v[72:73], v[19:20], s[30:31], v[72:73]
	v_fma_f64 v[74:75], v[17:18], s[30:31], -v[74:75]
	v_add_f64 v[80:81], v[102:103], v[68:69]
	v_add_f64 v[96:97], v[104:105], v[96:97]
	v_fma_f64 v[102:103], v[37:38], s[18:19], -v[116:117]
	v_fma_f64 v[104:105], v[39:40], s[18:19], v[118:119]
	v_mul_f64 v[120:121], v[43:44], s[22:23]
	v_mul_f64 v[122:123], v[41:42], s[22:23]
	s_mov_b32 s49, 0x3fcea1e5
	s_mov_b32 s48, s28
	v_add_f64 v[64:65], v[92:93], v[64:65]
	v_add_f64 v[66:67], v[94:95], v[70:71]
	;; [unrolled: 1-line block ×6, first 2 shown]
	v_fma_f64 v[76:77], v[29:30], s[20:21], -v[120:121]
	v_fma_f64 v[78:79], v[33:34], s[20:21], v[122:123]
	v_fma_f64 v[80:81], v[13:14], s[30:31], v[84:85]
	v_fma_f64 v[84:85], v[15:16], s[30:31], -v[86:87]
	v_mul_f64 v[86:87], v[35:36], s[48:49]
	v_mul_f64 v[92:93], v[31:32], s[48:49]
	s_mov_b32 s51, 0x3fea55e2
	s_mov_b32 s50, s24
	v_add_f64 v[72:73], v[76:77], v[72:73]
	v_add_f64 v[74:75], v[78:79], v[74:75]
	v_add_f64 v[76:77], v[80:81], v[106:107]
	v_add_f64 v[78:79], v[84:85], v[88:89]
	v_fma_f64 v[80:81], v[37:38], s[18:19], v[116:117]
	v_fma_f64 v[84:85], v[39:40], s[18:19], -v[118:119]
	v_fma_f64 v[88:89], v[23:24], s[34:35], -v[86:87]
	v_fma_f64 v[94:95], v[25:26], s[34:35], v[92:93]
	v_mul_f64 v[96:97], v[27:28], s[50:51]
	v_mul_f64 v[102:103], v[21:22], s[50:51]
	;; [unrolled: 1-line block ×4, first 2 shown]
	v_add_f64 v[76:77], v[80:81], v[76:77]
	v_add_f64 v[78:79], v[84:85], v[78:79]
	v_fma_f64 v[80:81], v[29:30], s[20:21], v[120:121]
	v_fma_f64 v[84:85], v[33:34], s[20:21], -v[122:123]
	v_add_f64 v[72:73], v[88:89], v[72:73]
	v_add_f64 v[74:75], v[94:95], v[74:75]
	v_mul_f64 v[88:89], v[11:12], s[42:43]
	v_mul_f64 v[94:95], v[9:10], s[42:43]
	v_fma_f64 v[104:105], v[19:20], s[26:27], -v[96:97]
	v_fma_f64 v[106:107], v[17:18], s[26:27], v[102:103]
	v_add_f64 v[76:77], v[80:81], v[76:77]
	v_add_f64 v[78:79], v[84:85], v[78:79]
	v_fma_f64 v[80:81], v[23:24], s[34:35], v[86:87]
	v_fma_f64 v[84:85], v[25:26], s[34:35], -v[92:93]
	v_fma_f64 v[86:87], v[13:14], s[20:21], -v[88:89]
	v_fma_f64 v[92:93], v[15:16], s[20:21], v[94:95]
	v_fma_f64 v[88:89], v[13:14], s[20:21], v[88:89]
	v_fma_f64 v[94:95], v[15:16], s[20:21], -v[94:95]
	v_add_f64 v[72:73], v[104:105], v[72:73]
	v_add_f64 v[74:75], v[106:107], v[74:75]
	;; [unrolled: 1-line block ×6, first 2 shown]
	v_fma_f64 v[86:87], v[37:38], s[26:27], -v[116:117]
	v_mul_f64 v[98:99], v[43:44], s[48:49]
	v_add_f64 v[88:89], v[88:89], v[114:115]
	v_add_f64 v[90:91], v[94:95], v[90:91]
	v_fma_f64 v[94:95], v[37:38], s[26:27], v[116:117]
	v_fma_f64 v[92:93], v[39:40], s[26:27], v[118:119]
	v_mul_f64 v[104:105], v[41:42], s[48:49]
	v_fma_f64 v[96:97], v[19:20], s[26:27], v[96:97]
	v_add_f64 v[80:81], v[86:87], v[80:81]
	v_fma_f64 v[86:87], v[29:30], s[34:35], -v[98:99]
	v_mul_f64 v[106:107], v[35:36], s[40:41]
	v_mul_f64 v[11:12], v[11:12], s[40:41]
	v_add_f64 v[88:89], v[94:95], v[88:89]
	v_fma_f64 v[94:95], v[29:30], s[34:35], v[98:99]
	v_mul_f64 v[9:10], v[9:10], s[40:41]
	v_add_f64 v[84:85], v[92:93], v[84:85]
	v_fma_f64 v[92:93], v[33:34], s[34:35], v[104:105]
	v_add_f64 v[80:81], v[86:87], v[80:81]
	v_fma_f64 v[86:87], v[23:24], s[18:19], -v[106:107]
	v_add_f64 v[76:77], v[96:97], v[76:77]
	v_fma_f64 v[96:97], v[33:34], s[34:35], -v[104:105]
	v_add_f64 v[88:89], v[94:95], v[88:89]
	v_fma_f64 v[94:95], v[23:24], s[18:19], v[106:107]
	v_fma_f64 v[104:105], v[13:14], s[18:19], -v[11:12]
	v_fma_f64 v[106:107], v[15:16], s[18:19], v[9:10]
	v_mul_f64 v[47:48], v[47:48], s[10:11]
	v_mul_f64 v[45:46], v[45:46], s[10:11]
	v_fma_f64 v[11:12], v[13:14], s[18:19], v[11:12]
	v_fma_f64 v[9:10], v[15:16], s[18:19], -v[9:10]
	v_mul_f64 v[112:113], v[31:32], s[40:41]
	v_add_f64 v[88:89], v[94:95], v[88:89]
	v_add_f64 v[13:14], v[104:105], v[82:83]
	;; [unrolled: 1-line block ×3, first 2 shown]
	v_fma_f64 v[82:83], v[37:38], s[30:31], -v[47:48]
	v_fma_f64 v[94:95], v[39:40], s[30:31], v[45:46]
	v_mul_f64 v[43:44], v[43:44], s[50:51]
	v_mul_f64 v[41:42], v[41:42], s[50:51]
	v_fma_f64 v[114:115], v[39:40], s[26:27], -v[118:119]
	v_add_f64 v[11:12], v[11:12], v[108:109]
	v_add_f64 v[9:10], v[9:10], v[110:111]
	v_fma_f64 v[37:38], v[37:38], s[30:31], v[47:48]
	v_fma_f64 v[39:40], v[39:40], s[30:31], -v[45:46]
	v_add_f64 v[84:85], v[92:93], v[84:85]
	v_fma_f64 v[92:93], v[25:26], s[18:19], v[112:113]
	v_add_f64 v[13:14], v[82:83], v[13:14]
	v_add_f64 v[15:16], v[94:95], v[15:16]
	v_fma_f64 v[45:46], v[29:30], s[26:27], -v[43:44]
	v_fma_f64 v[47:48], v[33:34], s[26:27], v[41:42]
	v_mul_f64 v[35:36], v[35:36], s[14:15]
	v_mul_f64 v[31:32], v[31:32], s[14:15]
	v_add_f64 v[90:91], v[114:115], v[90:91]
	v_add_f64 v[11:12], v[37:38], v[11:12]
	;; [unrolled: 1-line block ×3, first 2 shown]
	v_fma_f64 v[29:30], v[29:30], s[26:27], v[43:44]
	v_fma_f64 v[33:34], v[33:34], s[26:27], -v[41:42]
	v_fma_f64 v[102:103], v[17:18], s[26:27], -v[102:103]
	v_add_f64 v[80:81], v[86:87], v[80:81]
	v_add_f64 v[84:85], v[92:93], v[84:85]
	v_mul_f64 v[86:87], v[27:28], s[14:15]
	v_mul_f64 v[92:93], v[21:22], s[14:15]
	v_add_f64 v[13:14], v[45:46], v[13:14]
	v_add_f64 v[15:16], v[47:48], v[15:16]
	v_fma_f64 v[37:38], v[23:24], s[12:13], -v[35:36]
	v_fma_f64 v[39:40], v[25:26], s[12:13], v[31:32]
	v_mul_f64 v[27:28], v[27:28], s[42:43]
	v_mul_f64 v[21:22], v[21:22], s[42:43]
	v_add_f64 v[90:91], v[96:97], v[90:91]
	v_fma_f64 v[96:97], v[25:26], s[18:19], -v[112:113]
	v_add_f64 v[11:12], v[29:30], v[11:12]
	v_add_f64 v[9:10], v[33:34], v[9:10]
	v_fma_f64 v[23:24], v[23:24], s[12:13], v[35:36]
	v_fma_f64 v[25:26], v[25:26], s[12:13], -v[31:32]
	v_add_f64 v[78:79], v[102:103], v[78:79]
	v_fma_f64 v[98:99], v[19:20], s[12:13], -v[86:87]
	v_fma_f64 v[102:103], v[17:18], s[12:13], v[92:93]
	v_add_f64 v[33:34], v[37:38], v[13:14]
	v_add_f64 v[35:36], v[39:40], v[15:16]
	v_fma_f64 v[37:38], v[19:20], s[20:21], -v[27:28]
	v_fma_f64 v[39:40], v[17:18], s[20:21], v[21:22]
	v_add_f64 v[23:24], v[23:24], v[11:12]
	v_add_f64 v[25:26], v[25:26], v[9:10]
	v_fma_f64 v[27:28], v[19:20], s[20:21], v[27:28]
	v_fma_f64 v[41:42], v[17:18], s[20:21], -v[21:22]
	v_add_f64 v[90:91], v[96:97], v[90:91]
	v_fma_f64 v[29:30], v[19:20], s[12:13], v[86:87]
	v_fma_f64 v[31:32], v[17:18], s[12:13], -v[92:93]
	v_add_f64 v[9:10], v[98:99], v[80:81]
	v_add_f64 v[11:12], v[102:103], v[84:85]
	;; [unrolled: 1-line block ×4, first 2 shown]
	s_movk_i32 s3, 0x900
	v_add_f64 v[21:22], v[27:28], v[23:24]
	v_add_f64 v[23:24], v[41:42], v[25:26]
	v_mad_u32_u24 v25, v51, s3, v50
	v_add_f64 v[13:14], v[29:30], v[88:89]
	v_add_f64 v[15:16], v[31:32], v[90:91]
	s_barrier
	ds_write_b128 v25, v[5:8]
	ds_write_b128 v25, v[52:55] offset:192
	ds_write_b128 v25, v[56:59] offset:384
	;; [unrolled: 1-line block ×12, first 2 shown]
	v_add_u32_e32 v1, s53, v49
	v_cmp_gt_u32_e32 vcc, s16, v1
	s_mov_b32 s3, 0
	s_or_b64 s[16:17], s[46:47], vcc
	s_waitcnt lgkmcnt(0)
	s_barrier
	s_and_saveexec_b64 s[46:47], s[16:17]
	s_cbranch_execz .LBB0_8
; %bb.7:
	s_mov_b32 s7, 0x13b13b14
	v_mul_hi_u32 v1, v51, s7
	s_load_dwordx2 s[16:17], s[4:5], 0x0
	s_nop 0
	s_load_dwordx2 s[4:5], s[4:5], 0x60
	s_mul_i32 s7, s1, s53
	s_mul_i32 s2, s52, s2
	v_mul_u32_u24_e32 v1, 13, v1
	v_sub_u32_e32 v175, v51, v1
	v_mul_u32_u24_e32 v1, 12, v175
	v_lshlrev_b32_e32 v45, 4, v1
	s_waitcnt lgkmcnt(0)
	global_load_dwordx4 v[1:4], v45, s[16:17] offset:80
	global_load_dwordx4 v[5:8], v45, s[16:17] offset:96
	;; [unrolled: 1-line block ×10, first 2 shown]
	global_load_dwordx4 v[41:44], v45, s[16:17]
	s_nop 0
	global_load_dwordx4 v[45:48], v45, s[16:17] offset:176
	ds_read_b128 v[51:54], v50 offset:14976
	ds_read_b128 v[55:58], v50 offset:17472
	ds_read_b128 v[59:62], v50 offset:12480
	ds_read_b128 v[63:66], v50 offset:9984
	ds_read_b128 v[67:70], v50 offset:19968
	ds_read_b128 v[71:74], v50 offset:22464
	ds_read_b128 v[75:78], v50 offset:7488
	ds_read_b128 v[79:82], v50 offset:4992
	ds_read_b128 v[83:86], v50 offset:24960
	ds_read_b128 v[87:90], v50 offset:27456
	ds_read_b128 v[91:94], v50
	ds_read_b128 v[95:98], v50 offset:2496
	ds_read_b128 v[99:102], v50 offset:29952
	s_mul_hi_u32 s16, s0, s53
	s_add_i32 s17, s16, s7
	s_mul_i32 s16, s0, s53
	s_mul_i32 s7, s9, s33
	s_mul_hi_u32 s9, s8, s33
	s_add_i32 s9, s9, s7
	s_mul_i32 s8, s8, s33
	s_waitcnt vmcnt(11) lgkmcnt(12)
	v_mul_f64 v[103:104], v[51:52], v[3:4]
	v_mul_f64 v[3:4], v[53:54], v[3:4]
	s_waitcnt vmcnt(10) lgkmcnt(11)
	v_mul_f64 v[105:106], v[55:56], v[7:8]
	v_mul_f64 v[7:8], v[57:58], v[7:8]
	s_waitcnt vmcnt(7) lgkmcnt(9)
	v_mul_f64 v[111:112], v[63:64], v[19:20]
	s_waitcnt vmcnt(6) lgkmcnt(7)
	v_mul_f64 v[113:114], v[71:72], v[23:24]
	s_waitcnt vmcnt(5) lgkmcnt(6)
	v_mul_f64 v[115:116], v[75:76], v[27:28]
	s_waitcnt vmcnt(4) lgkmcnt(4)
	v_mul_f64 v[117:118], v[83:84], v[31:32]
	v_mul_f64 v[31:32], v[85:86], v[31:32]
	s_waitcnt vmcnt(3)
	v_mul_f64 v[119:120], v[79:80], v[35:36]
	s_waitcnt vmcnt(1) lgkmcnt(1)
	v_mul_f64 v[123:124], v[95:96], v[43:44]
	s_waitcnt vmcnt(0) lgkmcnt(0)
	v_mul_f64 v[125:126], v[99:100], v[47:48]
	v_mul_f64 v[121:122], v[87:88], v[39:40]
	;; [unrolled: 1-line block ×6, first 2 shown]
	v_fma_f64 v[85:86], v[85:86], v[29:30], v[117:118]
	v_fma_f64 v[97:98], v[97:98], v[41:42], v[123:124]
	;; [unrolled: 1-line block ×3, first 2 shown]
	v_fma_f64 v[83:84], v[83:84], v[29:30], -v[31:32]
	v_fma_f64 v[81:82], v[81:82], v[33:34], v[119:120]
	v_fma_f64 v[89:90], v[89:90], v[37:38], v[121:122]
	v_fma_f64 v[41:42], v[95:96], v[41:42], -v[43:44]
	v_fma_f64 v[95:96], v[99:100], v[45:46], -v[47:48]
	v_mul_f64 v[27:28], v[77:78], v[27:28]
	v_fma_f64 v[53:54], v[53:54], v[1:2], v[103:104]
	v_add_f64 v[29:30], v[97:98], v[101:102]
	v_fma_f64 v[50:51], v[51:52], v[1:2], -v[3:4]
	v_fma_f64 v[77:78], v[77:78], v[25:26], v[115:116]
	v_fma_f64 v[43:44], v[79:80], v[33:34], -v[35:36]
	v_fma_f64 v[45:46], v[87:88], v[37:38], -v[39:40]
	v_add_f64 v[47:48], v[81:82], v[89:90]
	v_add_f64 v[79:80], v[41:42], -v[95:96]
	v_mul_f64 v[107:108], v[59:60], v[11:12]
	v_mul_f64 v[1:2], v[29:30], s[34:35]
	;; [unrolled: 1-line block ×6, first 2 shown]
	v_fma_f64 v[57:58], v[57:58], v[5:6], v[105:106]
	v_fma_f64 v[55:56], v[55:56], v[5:6], -v[7:8]
	v_fma_f64 v[65:66], v[65:66], v[17:18], v[111:112]
	v_fma_f64 v[73:74], v[73:74], v[21:22], v[113:114]
	v_fma_f64 v[75:76], v[75:76], v[25:26], -v[27:28]
	v_add_f64 v[33:34], v[97:98], -v[101:102]
	v_add_f64 v[103:104], v[77:78], v[85:86]
	v_add_f64 v[105:106], v[43:44], -v[45:46]
	v_mul_f64 v[5:6], v[47:48], s[18:19]
	v_fma_f64 v[135:136], v[79:80], s[48:49], v[1:2]
	v_mul_f64 v[15:16], v[69:70], v[15:16]
	v_fma_f64 v[61:62], v[61:62], v[9:10], v[107:108]
	v_fma_f64 v[59:60], v[59:60], v[9:10], -v[11:12]
	v_fma_f64 v[69:70], v[69:70], v[13:14], v[109:110]
	v_fma_f64 v[63:64], v[63:64], v[17:18], -v[19:20]
	v_fma_f64 v[71:72], v[71:72], v[21:22], -v[23:24]
	v_add_f64 v[39:40], v[65:66], v[73:74]
	v_add_f64 v[87:88], v[81:82], -v[89:90]
	v_add_f64 v[99:100], v[41:42], v[95:96]
	v_add_f64 v[111:112], v[75:76], -v[83:84]
	v_mul_f64 v[3:4], v[33:34], s[28:29]
	v_mul_f64 v[9:10], v[103:104], s[30:31]
	v_fma_f64 v[143:144], v[105:106], s[36:37], v[5:6]
	v_add_f64 v[135:136], v[93:94], v[135:136]
	v_fma_f64 v[67:68], v[67:68], v[13:14], -v[15:16]
	v_add_f64 v[37:38], v[61:62], v[69:70]
	v_add_f64 v[107:108], v[77:78], -v[85:86]
	v_add_f64 v[109:110], v[43:44], v[45:46]
	v_add_f64 v[115:116], v[65:66], -v[73:74]
	v_add_f64 v[117:118], v[63:64], -v[71:72]
	v_mul_f64 v[7:8], v[87:88], s[40:41]
	v_mul_f64 v[13:14], v[39:40], s[26:27]
	v_fma_f64 v[141:142], v[99:100], s[34:35], v[3:4]
	v_fma_f64 v[147:148], v[111:112], s[38:39], v[9:10]
	;; [unrolled: 1-line block ×3, first 2 shown]
	v_add_f64 v[135:136], v[143:144], v[135:136]
	v_add_f64 v[113:114], v[75:76], v[83:84]
	;; [unrolled: 1-line block ×3, first 2 shown]
	v_add_f64 v[121:122], v[59:60], -v[67:68]
	v_add_f64 v[127:128], v[53:54], v[57:58]
	v_mul_f64 v[11:12], v[107:108], s[10:11]
	v_mul_f64 v[15:16], v[115:116], s[50:51]
	;; [unrolled: 1-line block ×4, first 2 shown]
	v_fma_f64 v[145:146], v[109:110], s[18:19], v[7:8]
	v_fma_f64 v[151:152], v[117:118], s[24:25], v[13:14]
	v_add_f64 v[141:142], v[91:92], v[141:142]
	v_fma_f64 v[5:6], v[105:106], s[40:41], v[5:6]
	v_fma_f64 v[3:4], v[99:100], s[34:35], -v[3:4]
	v_add_f64 v[1:2], v[93:94], v[1:2]
	v_add_f64 v[135:136], v[147:148], v[135:136]
	v_add_f64 v[123:124], v[61:62], -v[69:70]
	v_add_f64 v[129:130], v[50:51], -v[55:56]
	v_mul_f64 v[21:22], v[127:128], s[20:21]
	v_mul_f64 v[27:28], v[47:48], s[20:21]
	;; [unrolled: 1-line block ×3, first 2 shown]
	v_fma_f64 v[149:150], v[113:114], s[30:31], v[11:12]
	v_fma_f64 v[153:154], v[119:120], s[26:27], v[15:16]
	;; [unrolled: 1-line block ×3, first 2 shown]
	v_fma_f64 v[7:8], v[109:110], s[18:19], -v[7:8]
	v_fma_f64 v[9:10], v[111:112], s[10:11], v[9:10]
	v_add_f64 v[141:142], v[145:146], v[141:142]
	v_add_f64 v[3:4], v[91:92], v[3:4]
	;; [unrolled: 1-line block ×3, first 2 shown]
	v_fma_f64 v[5:6], v[117:118], s[50:51], v[13:14]
	v_fma_f64 v[13:14], v[119:120], s[26:27], -v[15:16]
	v_fma_f64 v[15:16], v[79:80], s[38:39], v[25:26]
	v_add_f64 v[135:136], v[151:152], v[135:136]
	v_add_f64 v[125:126], v[59:60], v[67:68]
	v_add_f64 v[131:132], v[53:54], -v[57:58]
	v_mul_f64 v[19:20], v[123:124], s[14:15]
	v_mul_f64 v[31:32], v[103:104], s[26:27]
	;; [unrolled: 1-line block ×3, first 2 shown]
	v_fma_f64 v[159:160], v[129:130], s[22:23], v[21:22]
	v_fma_f64 v[11:12], v[113:114], s[30:31], -v[11:12]
	v_add_f64 v[141:142], v[149:150], v[141:142]
	v_add_f64 v[3:4], v[7:8], v[3:4]
	;; [unrolled: 1-line block ×3, first 2 shown]
	v_fma_f64 v[7:8], v[99:100], s[30:31], v[35:36]
	v_fma_f64 v[9:10], v[105:106], s[22:23], v[27:28]
	v_add_f64 v[15:16], v[93:94], v[15:16]
	v_add_f64 v[135:136], v[155:156], v[135:136]
	;; [unrolled: 1-line block ×3, first 2 shown]
	v_mul_f64 v[23:24], v[131:132], s[42:43]
	v_mul_f64 v[139:140], v[107:108], s[24:25]
	v_fma_f64 v[157:158], v[125:126], s[12:13], v[19:20]
	v_fma_f64 v[17:18], v[121:122], s[14:15], v[17:18]
	v_add_f64 v[141:142], v[153:154], v[141:142]
	v_fma_f64 v[145:146], v[109:110], s[20:21], v[137:138]
	v_add_f64 v[11:12], v[11:12], v[3:4]
	v_add_f64 v[1:2], v[5:6], v[1:2]
	v_add_f64 v[5:6], v[91:92], v[7:8]
	v_fma_f64 v[7:8], v[111:112], s[50:51], v[31:32]
	v_add_f64 v[9:10], v[9:10], v[15:16]
	v_add_f64 v[3:4], v[159:160], v[135:136]
	v_mul_f64 v[135:136], v[39:40], s[34:35]
	v_fma_f64 v[143:144], v[133:134], s[20:21], v[23:24]
	v_add_f64 v[15:16], v[157:158], v[141:142]
	v_add_f64 v[11:12], v[13:14], v[11:12]
	;; [unrolled: 1-line block ×4, first 2 shown]
	v_fma_f64 v[5:6], v[113:114], s[26:27], v[139:140]
	v_mul_f64 v[17:18], v[115:116], s[48:49]
	v_fma_f64 v[19:20], v[125:126], s[12:13], -v[19:20]
	v_add_f64 v[7:8], v[7:8], v[9:10]
	v_fma_f64 v[9:10], v[117:118], s[28:29], v[135:136]
	v_mul_f64 v[141:142], v[37:38], s[18:19]
	v_fma_f64 v[21:22], v[129:130], s[42:43], v[21:22]
	v_fma_f64 v[23:24], v[133:134], s[20:21], -v[23:24]
	v_add_f64 v[5:6], v[5:6], v[1:2]
	v_fma_f64 v[145:146], v[119:120], s[34:35], v[17:18]
	v_add_f64 v[11:12], v[19:20], v[11:12]
	v_add_f64 v[1:2], v[143:144], v[15:16]
	;; [unrolled: 1-line block ×3, first 2 shown]
	v_fma_f64 v[147:148], v[121:122], s[36:37], v[141:142]
	v_mul_f64 v[15:16], v[127:128], s[12:13]
	v_add_f64 v[7:8], v[21:22], v[13:14]
	v_fma_f64 v[21:22], v[79:80], s[10:11], v[25:26]
	v_mul_f64 v[19:20], v[123:124], s[40:41]
	v_add_f64 v[13:14], v[145:146], v[5:6]
	v_add_f64 v[5:6], v[23:24], v[11:12]
	v_fma_f64 v[11:12], v[99:100], s[30:31], -v[35:36]
	v_add_f64 v[9:10], v[147:148], v[9:10]
	v_fma_f64 v[23:24], v[129:130], s[44:45], v[15:16]
	v_mul_f64 v[35:36], v[29:30], s[12:13]
	v_fma_f64 v[27:28], v[105:106], s[42:43], v[27:28]
	v_add_f64 v[21:22], v[93:94], v[21:22]
	v_fma_f64 v[25:26], v[125:126], s[18:19], v[19:20]
	v_fma_f64 v[137:138], v[109:110], s[20:21], -v[137:138]
	v_add_f64 v[143:144], v[91:92], v[11:12]
	v_fma_f64 v[139:140], v[113:114], s[26:27], -v[139:140]
	v_add_f64 v[11:12], v[23:24], v[9:10]
	v_fma_f64 v[9:10], v[79:80], s[44:45], v[35:36]
	v_mul_f64 v[23:24], v[47:48], s[30:31]
	v_add_f64 v[21:22], v[27:28], v[21:22]
	v_fma_f64 v[27:28], v[111:112], s[24:25], v[31:32]
	v_mul_f64 v[31:32], v[33:34], s[14:15]
	v_add_f64 v[13:14], v[25:26], v[13:14]
	v_mul_f64 v[25:26], v[131:132], s[14:15]
	v_add_f64 v[137:138], v[137:138], v[143:144]
	v_add_f64 v[9:10], v[93:94], v[9:10]
	v_fma_f64 v[143:144], v[105:106], s[10:11], v[23:24]
	v_mul_f64 v[147:148], v[103:104], s[18:19]
	v_add_f64 v[21:22], v[27:28], v[21:22]
	v_fma_f64 v[27:28], v[99:100], s[12:13], v[31:32]
	v_mul_f64 v[149:150], v[87:88], s[38:39]
	v_fma_f64 v[145:146], v[133:134], s[12:13], v[25:26]
	v_fma_f64 v[135:136], v[117:118], s[48:49], v[135:136]
	v_add_f64 v[137:138], v[139:140], v[137:138]
	v_fma_f64 v[17:18], v[119:120], s[34:35], -v[17:18]
	v_add_f64 v[9:10], v[143:144], v[9:10]
	v_fma_f64 v[139:140], v[111:112], s[36:37], v[147:148]
	v_mul_f64 v[143:144], v[39:40], s[20:21]
	v_add_f64 v[27:28], v[91:92], v[27:28]
	v_fma_f64 v[151:152], v[109:110], s[30:31], v[149:150]
	v_mul_f64 v[153:154], v[107:108], s[40:41]
	v_add_f64 v[21:22], v[135:136], v[21:22]
	v_fma_f64 v[135:136], v[121:122], s[40:41], v[141:142]
	v_add_f64 v[17:18], v[17:18], v[137:138]
	v_fma_f64 v[19:20], v[125:126], s[18:19], -v[19:20]
	v_add_f64 v[137:138], v[139:140], v[9:10]
	v_fma_f64 v[139:140], v[117:118], s[42:43], v[143:144]
	v_add_f64 v[27:28], v[151:152], v[27:28]
	v_fma_f64 v[141:142], v[113:114], s[18:19], v[153:154]
	v_add_f64 v[9:10], v[145:146], v[13:14]
	v_mul_f64 v[145:146], v[115:116], s[22:23]
	v_add_f64 v[13:14], v[135:136], v[21:22]
	v_add_f64 v[17:18], v[19:20], v[17:18]
	v_fma_f64 v[35:36], v[79:80], s[14:15], v[35:36]
	v_add_f64 v[19:20], v[139:140], v[137:138]
	v_mul_f64 v[137:138], v[123:124], s[48:49]
	v_add_f64 v[27:28], v[141:142], v[27:28]
	v_mul_f64 v[21:22], v[37:38], s[34:35]
	v_fma_f64 v[135:136], v[119:120], s[20:21], v[145:146]
	v_fma_f64 v[15:16], v[129:130], s[14:15], v[15:16]
	v_fma_f64 v[25:26], v[133:134], s[12:13], -v[25:26]
	v_fma_f64 v[23:24], v[105:106], s[38:39], v[23:24]
	v_add_f64 v[35:36], v[93:94], v[35:36]
	v_fma_f64 v[31:32], v[99:100], s[12:13], -v[31:32]
	v_mul_f64 v[151:152], v[29:30], s[20:21]
	v_fma_f64 v[139:140], v[121:122], s[28:29], v[21:22]
	v_add_f64 v[27:28], v[135:136], v[27:28]
	v_fma_f64 v[135:136], v[125:126], s[34:35], v[137:138]
	v_mul_f64 v[141:142], v[127:128], s[26:27]
	v_add_f64 v[15:16], v[15:16], v[13:14]
	v_add_f64 v[13:14], v[25:26], v[17:18]
	;; [unrolled: 1-line block ×3, first 2 shown]
	v_fma_f64 v[23:24], v[111:112], s[40:41], v[147:148]
	v_add_f64 v[31:32], v[91:92], v[31:32]
	v_fma_f64 v[35:36], v[79:80], s[42:43], v[151:152]
	v_add_f64 v[25:26], v[135:136], v[27:28]
	v_fma_f64 v[27:28], v[109:110], s[30:31], -v[149:150]
	v_mul_f64 v[135:136], v[47:48], s[34:35]
	v_mul_f64 v[147:148], v[33:34], s[22:23]
	v_add_f64 v[19:20], v[139:140], v[19:20]
	v_fma_f64 v[139:140], v[129:130], s[24:25], v[141:142]
	v_add_f64 v[17:18], v[23:24], v[17:18]
	v_fma_f64 v[23:24], v[117:118], s[22:23], v[143:144]
	v_add_f64 v[35:36], v[93:94], v[35:36]
	v_add_f64 v[27:28], v[27:28], v[31:32]
	v_fma_f64 v[31:32], v[113:114], s[18:19], -v[153:154]
	v_fma_f64 v[143:144], v[105:106], s[48:49], v[135:136]
	v_mul_f64 v[149:150], v[103:104], s[12:13]
	v_fma_f64 v[155:156], v[99:100], s[20:21], v[147:148]
	v_mul_f64 v[157:158], v[87:88], s[28:29]
	v_add_f64 v[19:20], v[139:140], v[19:20]
	v_mul_f64 v[139:140], v[131:132], s[50:51]
	v_add_f64 v[23:24], v[23:24], v[17:18]
	v_add_f64 v[17:18], v[31:32], v[27:28]
	v_fma_f64 v[27:28], v[119:120], s[20:21], -v[145:146]
	v_add_f64 v[31:32], v[143:144], v[35:36]
	v_fma_f64 v[35:36], v[111:112], s[14:15], v[149:150]
	v_mul_f64 v[143:144], v[39:40], s[18:19]
	v_add_f64 v[145:146], v[91:92], v[155:156]
	v_fma_f64 v[155:156], v[109:110], s[34:35], v[157:158]
	v_mul_f64 v[159:160], v[107:108], s[44:45]
	v_fma_f64 v[21:22], v[121:122], s[48:49], v[21:22]
	v_fma_f64 v[153:154], v[133:134], s[26:27], v[139:140]
	v_add_f64 v[27:28], v[27:28], v[17:18]
	v_fma_f64 v[137:138], v[125:126], s[34:35], -v[137:138]
	v_add_f64 v[31:32], v[35:36], v[31:32]
	v_fma_f64 v[35:36], v[117:118], s[36:37], v[143:144]
	v_mul_f64 v[161:162], v[37:38], s[26:27]
	v_add_f64 v[145:146], v[155:156], v[145:146]
	v_fma_f64 v[155:156], v[113:114], s[12:13], v[159:160]
	v_mul_f64 v[163:164], v[115:116], s[40:41]
	v_add_f64 v[21:22], v[21:22], v[23:24]
	v_fma_f64 v[23:24], v[79:80], s[22:23], v[151:152]
	v_add_f64 v[17:18], v[153:154], v[25:26]
	v_add_f64 v[25:26], v[137:138], v[27:28]
	;; [unrolled: 1-line block ×3, first 2 shown]
	v_fma_f64 v[31:32], v[121:122], s[50:51], v[161:162]
	v_add_f64 v[35:36], v[155:156], v[145:146]
	v_fma_f64 v[137:138], v[119:120], s[18:19], v[163:164]
	v_mul_f64 v[145:146], v[123:124], s[24:25]
	v_fma_f64 v[135:136], v[105:106], s[28:29], v[135:136]
	v_add_f64 v[23:24], v[93:94], v[23:24]
	v_fma_f64 v[141:142], v[129:130], s[50:51], v[141:142]
	v_fma_f64 v[139:140], v[133:134], s[26:27], -v[139:140]
	v_mul_f64 v[151:152], v[127:128], s[30:31]
	v_add_f64 v[27:28], v[31:32], v[27:28]
	v_add_f64 v[31:32], v[137:138], v[35:36]
	v_fma_f64 v[35:36], v[125:126], s[26:27], v[145:146]
	v_mul_f64 v[137:138], v[131:132], s[10:11]
	v_add_f64 v[135:136], v[135:136], v[23:24]
	v_fma_f64 v[149:150], v[111:112], s[44:45], v[149:150]
	v_add_f64 v[23:24], v[141:142], v[21:22]
	v_add_f64 v[21:22], v[139:140], v[25:26]
	v_mul_f64 v[139:140], v[29:30], s[26:27]
	v_fma_f64 v[153:154], v[129:130], s[38:39], v[151:152]
	v_add_f64 v[25:26], v[35:36], v[31:32]
	v_fma_f64 v[31:32], v[133:134], s[30:31], v[137:138]
	v_mul_f64 v[35:36], v[33:34], s[24:25]
	v_add_f64 v[135:136], v[149:150], v[135:136]
	v_fma_f64 v[141:142], v[99:100], s[20:21], -v[147:148]
	v_fma_f64 v[143:144], v[117:118], s[40:41], v[143:144]
	v_fma_f64 v[147:148], v[79:80], s[50:51], v[139:140]
	v_mul_f64 v[149:150], v[47:48], s[12:13]
	v_add_f64 v[27:28], v[153:154], v[27:28]
	v_add_f64 v[25:26], v[31:32], v[25:26]
	v_fma_f64 v[31:32], v[99:100], s[26:27], v[35:36]
	v_mul_f64 v[153:154], v[87:88], s[14:15]
	v_fma_f64 v[155:156], v[109:110], s[34:35], -v[157:158]
	v_add_f64 v[141:142], v[91:92], v[141:142]
	v_add_f64 v[135:136], v[143:144], v[135:136]
	;; [unrolled: 1-line block ×3, first 2 shown]
	v_fma_f64 v[147:148], v[105:106], s[44:45], v[149:150]
	v_mul_f64 v[157:158], v[103:104], s[34:35]
	v_add_f64 v[31:32], v[91:92], v[31:32]
	v_fma_f64 v[165:166], v[109:110], s[12:13], v[153:154]
	v_mul_f64 v[167:168], v[107:108], s[28:29]
	v_add_f64 v[141:142], v[155:156], v[141:142]
	v_fma_f64 v[155:156], v[113:114], s[12:13], -v[159:160]
	v_fma_f64 v[159:160], v[121:122], s[24:25], v[161:162]
	v_add_f64 v[143:144], v[147:148], v[143:144]
	v_fma_f64 v[147:148], v[111:112], s[48:49], v[157:158]
	v_mul_f64 v[161:162], v[39:40], s[30:31]
	v_add_f64 v[31:32], v[165:166], v[31:32]
	v_fma_f64 v[165:166], v[113:114], s[34:35], v[167:168]
	v_mul_f64 v[169:170], v[115:116], s[38:39]
	v_add_f64 v[141:142], v[155:156], v[141:142]
	v_fma_f64 v[155:156], v[119:120], s[18:19], -v[163:164]
	v_add_f64 v[135:136], v[159:160], v[135:136]
	v_add_f64 v[143:144], v[147:148], v[143:144]
	v_fma_f64 v[147:148], v[117:118], s[10:11], v[161:162]
	v_mul_f64 v[159:160], v[37:38], s[20:21]
	v_add_f64 v[31:32], v[165:166], v[31:32]
	v_fma_f64 v[163:164], v[119:120], s[30:31], v[169:170]
	v_mul_f64 v[165:166], v[123:124], s[42:43]
	v_add_f64 v[141:142], v[155:156], v[141:142]
	v_fma_f64 v[145:146], v[125:126], s[26:27], -v[145:146]
	v_fma_f64 v[151:152], v[129:130], s[10:11], v[151:152]
	v_add_f64 v[143:144], v[147:148], v[143:144]
	v_fma_f64 v[147:148], v[121:122], s[22:23], v[159:160]
	v_mul_f64 v[155:156], v[127:128], s[18:19]
	v_add_f64 v[97:98], v[93:94], v[97:98]
	v_add_f64 v[163:164], v[163:164], v[31:32]
	v_fma_f64 v[171:172], v[125:126], s[20:21], v[165:166]
	v_mul_f64 v[173:174], v[131:132], s[40:41]
	v_add_f64 v[141:142], v[145:146], v[141:142]
	v_fma_f64 v[137:138], v[133:134], s[30:31], -v[137:138]
	v_add_f64 v[31:32], v[151:152], v[135:136]
	v_add_f64 v[135:136], v[147:148], v[143:144]
	v_fma_f64 v[143:144], v[129:130], s[36:37], v[155:156]
	v_mul_f64 v[151:152], v[29:30], s[18:19]
	v_add_f64 v[41:42], v[91:92], v[41:42]
	v_add_f64 v[81:82], v[97:98], v[81:82]
	v_fma_f64 v[139:140], v[79:80], s[24:25], v[139:140]
	v_add_f64 v[145:146], v[171:172], v[163:164]
	v_fma_f64 v[147:148], v[133:134], s[18:19], v[173:174]
	v_add_f64 v[29:30], v[137:138], v[141:142]
	v_mul_f64 v[137:138], v[33:34], s[36:37]
	v_fma_f64 v[141:142], v[99:100], s[26:27], -v[35:36]
	v_add_f64 v[35:36], v[143:144], v[135:136]
	v_fma_f64 v[143:144], v[79:80], s[40:41], v[151:152]
	v_mul_f64 v[47:48], v[47:48], s[26:27]
	v_add_f64 v[41:42], v[41:42], v[43:44]
	v_add_f64 v[43:44], v[81:82], v[77:78]
	;; [unrolled: 1-line block ×3, first 2 shown]
	v_fma_f64 v[139:140], v[105:106], s[14:15], v[149:150]
	v_add_f64 v[33:34], v[147:148], v[145:146]
	v_fma_f64 v[145:146], v[99:100], s[18:19], v[137:138]
	v_fma_f64 v[99:100], v[99:100], s[18:19], -v[137:138]
	v_add_f64 v[137:138], v[93:94], v[143:144]
	v_fma_f64 v[97:98], v[105:106], s[50:51], v[47:48]
	v_mul_f64 v[103:104], v[103:104], s[20:21]
	v_add_f64 v[41:42], v[41:42], v[75:76]
	v_add_f64 v[43:44], v[43:44], v[65:66]
	;; [unrolled: 1-line block ×3, first 2 shown]
	v_fma_f64 v[139:140], v[111:112], s[28:29], v[157:158]
	v_fma_f64 v[79:80], v[79:80], s[36:37], v[151:152]
	v_add_f64 v[141:142], v[91:92], v[141:142]
	v_add_f64 v[77:78], v[97:98], v[137:138]
	v_fma_f64 v[81:82], v[111:112], s[42:43], v[103:104]
	v_mul_f64 v[97:98], v[39:40], s[12:13]
	v_add_f64 v[41:42], v[41:42], v[63:64]
	v_add_f64 v[43:44], v[43:44], v[61:62]
	v_fma_f64 v[147:148], v[109:110], s[12:13], -v[153:154]
	v_add_f64 v[135:136], v[139:140], v[135:136]
	v_fma_f64 v[143:144], v[117:118], s[38:39], v[161:162]
	v_mul_f64 v[37:38], v[37:38], s[30:31]
	v_add_f64 v[75:76], v[81:82], v[77:78]
	v_fma_f64 v[77:78], v[117:118], s[44:45], v[97:98]
	v_mul_f64 v[61:62], v[87:88], s[24:25]
	v_add_f64 v[41:42], v[41:42], v[59:60]
	v_add_f64 v[43:44], v[43:44], v[53:54]
	;; [unrolled: 1-line block ×3, first 2 shown]
	v_fma_f64 v[141:142], v[113:114], s[34:35], -v[167:168]
	v_add_f64 v[39:40], v[91:92], v[145:146]
	v_add_f64 v[65:66], v[143:144], v[135:136]
	v_fma_f64 v[81:82], v[121:122], s[42:43], v[159:160]
	v_add_f64 v[75:76], v[77:78], v[75:76]
	v_fma_f64 v[77:78], v[121:122], s[38:39], v[37:38]
	v_add_f64 v[79:80], v[93:94], v[79:80]
	v_add_f64 v[87:88], v[91:92], v[99:100]
	v_fma_f64 v[52:53], v[109:110], s[26:27], v[61:62]
	v_fma_f64 v[47:48], v[105:106], s[24:25], v[47:48]
	v_fma_f64 v[61:62], v[109:110], s[26:27], -v[61:62]
	v_add_f64 v[41:42], v[41:42], v[50:51]
	v_add_f64 v[43:44], v[43:44], v[57:58]
	v_mul_f64 v[57:58], v[107:108], s[22:23]
	v_add_f64 v[137:138], v[141:142], v[139:140]
	v_fma_f64 v[139:140], v[119:120], s[30:31], -v[169:170]
	v_add_f64 v[59:60], v[81:82], v[65:66]
	v_add_f64 v[65:66], v[77:78], v[75:76]
	;; [unrolled: 1-line block ×3, first 2 shown]
	v_mul_f64 v[75:76], v[115:116], s[14:15]
	v_fma_f64 v[77:78], v[111:112], s[22:23], v[103:104]
	v_add_f64 v[47:48], v[47:48], v[79:80]
	v_fma_f64 v[79:80], v[113:114], s[20:21], v[57:58]
	v_fma_f64 v[57:58], v[113:114], s[20:21], -v[57:58]
	v_add_f64 v[41:42], v[41:42], v[55:56]
	v_add_f64 v[54:55], v[61:62], v[87:88]
	;; [unrolled: 1-line block ×4, first 2 shown]
	v_fma_f64 v[63:64], v[125:126], s[20:21], -v[165:166]
	v_fma_f64 v[39:40], v[129:130], s[40:41], v[155:156]
	v_mul_f64 v[93:94], v[123:124], s[10:11]
	v_fma_f64 v[99:100], v[119:120], s[12:13], v[75:76]
	v_add_f64 v[50:51], v[79:80], v[50:51]
	v_fma_f64 v[61:62], v[117:118], s[14:15], v[97:98]
	v_add_f64 v[47:48], v[77:78], v[47:48]
	v_fma_f64 v[75:76], v[119:120], s[12:13], -v[75:76]
	v_add_f64 v[54:55], v[57:58], v[54:55]
	v_add_f64 v[43:44], v[43:44], v[73:74]
	;; [unrolled: 1-line block ×3, first 2 shown]
	v_mul_f64 v[52:53], v[127:128], s[34:35]
	v_add_f64 v[39:40], v[39:40], v[59:60]
	v_fma_f64 v[59:60], v[133:134], s[18:19], -v[173:174]
	v_mul_f64 v[91:92], v[131:132], s[28:29]
	v_fma_f64 v[69:70], v[125:126], s[30:31], v[93:94]
	v_add_f64 v[41:42], v[41:42], v[67:68]
	v_add_f64 v[50:51], v[99:100], v[50:51]
	v_fma_f64 v[37:38], v[121:122], s[10:11], v[37:38]
	v_add_f64 v[47:48], v[61:62], v[47:48]
	v_fma_f64 v[61:62], v[125:126], s[30:31], -v[93:94]
	v_add_f64 v[54:55], v[75:76], v[54:55]
	v_add_f64 v[43:44], v[43:44], v[85:86]
	v_fma_f64 v[81:82], v[129:130], s[48:49], v[52:53]
	v_fma_f64 v[56:57], v[133:134], s[34:35], v[91:92]
	v_add_f64 v[41:42], v[41:42], v[71:72]
	v_add_f64 v[50:51], v[69:70], v[50:51]
	v_fma_f64 v[52:53], v[129:130], s[28:29], v[52:53]
	v_add_f64 v[47:48], v[37:38], v[47:48]
	v_add_f64 v[37:38], v[59:60], v[63:64]
	;; [unrolled: 1-line block ×4, first 2 shown]
	v_fma_f64 v[58:59], v[133:134], s[34:35], -v[91:92]
	v_add_f64 v[63:64], v[41:42], v[83:84]
	v_add_f64 v[41:42], v[56:57], v[50:51]
	v_mad_u64_u32 v[56:57], s[10:11], s0, v49, 0
	v_add_f64 v[47:48], v[52:53], v[47:48]
	v_add_f64 v[43:44], v[81:82], v[65:66]
	;; [unrolled: 1-line block ×3, first 2 shown]
	v_mov_b32_e32 v50, v57
	v_add_f64 v[62:63], v[63:64], v[45:46]
	v_add_f64 v[45:46], v[58:59], v[54:55]
	v_mad_u64_u32 v[53:54], s[0:1], s1, v49, v[50:51]
	s_mov_b32 s0, 0x1a41a42
	v_mul_hi_u32 v0, v0, s0
	s_movk_i32 s0, 0xa9
	v_add_f64 v[49:50], v[62:63], v[95:96]
	v_mov_b32_e32 v57, v53
	v_mad_u32_u24 v0, v0, s0, v175
	s_lshl_b64 s[0:1], s[16:17], 4
	s_add_u32 s4, s4, s0
	s_addc_u32 s5, s5, s1
	s_lshl_b64 s[0:1], s[2:3], 4
	s_add_u32 s2, s4, s0
	v_mul_lo_u32 v53, v0, s6
	s_addc_u32 s3, s5, s1
	s_lshl_b64 s[0:1], s[8:9], 4
	s_add_u32 s0, s2, s0
	v_lshlrev_b64 v[55:56], 4, v[56:57]
	s_addc_u32 s1, s3, s1
	v_mov_b32_e32 v54, 0
	v_mov_b32_e32 v0, s1
	v_add_co_u32_e32 v57, vcc, s0, v55
	v_addc_co_u32_e32 v58, vcc, v0, v56, vcc
	v_lshlrev_b64 v[55:56], 4, v[53:54]
	s_mul_i32 s0, s6, 13
	v_add_co_u32_e32 v55, vcc, v57, v55
	v_addc_co_u32_e32 v56, vcc, v58, v56, vcc
	v_add_u32_e32 v53, s0, v53
	global_store_dwordx4 v[55:56], v[49:52], off
	s_nop 0
	v_lshlrev_b64 v[49:50], 4, v[53:54]
	v_add_u32_e32 v53, s0, v53
	v_add_co_u32_e32 v49, vcc, v57, v49
	v_addc_co_u32_e32 v50, vcc, v58, v50, vcc
	global_store_dwordx4 v[49:50], v[45:48], off
	s_nop 0
	v_lshlrev_b64 v[45:46], 4, v[53:54]
	v_add_u32_e32 v53, s0, v53
	v_add_co_u32_e32 v45, vcc, v57, v45
	v_addc_co_u32_e32 v46, vcc, v58, v46, vcc
	;; [unrolled: 6-line block ×8, first 2 shown]
	global_store_dwordx4 v[0:1], v[9:12], off
	v_lshlrev_b64 v[0:1], 4, v[53:54]
	v_add_u32_e32 v53, s0, v53
	v_add_co_u32_e32 v0, vcc, v57, v0
	v_addc_co_u32_e32 v1, vcc, v58, v1, vcc
	global_store_dwordx4 v[0:1], v[17:20], off
	v_lshlrev_b64 v[0:1], 4, v[53:54]
	v_add_u32_e32 v53, s0, v53
	v_add_co_u32_e32 v0, vcc, v57, v0
	v_addc_co_u32_e32 v1, vcc, v58, v1, vcc
	;; [unrolled: 5-line block ×3, first 2 shown]
	global_store_dwordx4 v[0:1], v[33:36], off
	v_lshlrev_b64 v[0:1], 4, v[53:54]
	v_add_co_u32_e32 v0, vcc, v57, v0
	v_addc_co_u32_e32 v1, vcc, v58, v1, vcc
	global_store_dwordx4 v[0:1], v[41:44], off
.LBB0_8:
	s_endpgm
	.section	.rodata,"a",@progbits
	.p2align	6, 0x0
	.amdhsa_kernel fft_rtc_fwd_len169_factors_13_13_wgs_156_tpt_13_dp_op_CI_CI_sbrc_z_xy_unaligned_dirReg
		.amdhsa_group_segment_fixed_size 0
		.amdhsa_private_segment_fixed_size 0
		.amdhsa_kernarg_size 104
		.amdhsa_user_sgpr_count 6
		.amdhsa_user_sgpr_private_segment_buffer 1
		.amdhsa_user_sgpr_dispatch_ptr 0
		.amdhsa_user_sgpr_queue_ptr 0
		.amdhsa_user_sgpr_kernarg_segment_ptr 1
		.amdhsa_user_sgpr_dispatch_id 0
		.amdhsa_user_sgpr_flat_scratch_init 0
		.amdhsa_user_sgpr_private_segment_size 0
		.amdhsa_uses_dynamic_stack 0
		.amdhsa_system_sgpr_private_segment_wavefront_offset 0
		.amdhsa_system_sgpr_workgroup_id_x 1
		.amdhsa_system_sgpr_workgroup_id_y 0
		.amdhsa_system_sgpr_workgroup_id_z 0
		.amdhsa_system_sgpr_workgroup_info 0
		.amdhsa_system_vgpr_workitem_id 0
		.amdhsa_next_free_vgpr 176
		.amdhsa_next_free_sgpr 54
		.amdhsa_reserve_vcc 1
		.amdhsa_reserve_flat_scratch 0
		.amdhsa_float_round_mode_32 0
		.amdhsa_float_round_mode_16_64 0
		.amdhsa_float_denorm_mode_32 3
		.amdhsa_float_denorm_mode_16_64 3
		.amdhsa_dx10_clamp 1
		.amdhsa_ieee_mode 1
		.amdhsa_fp16_overflow 0
		.amdhsa_exception_fp_ieee_invalid_op 0
		.amdhsa_exception_fp_denorm_src 0
		.amdhsa_exception_fp_ieee_div_zero 0
		.amdhsa_exception_fp_ieee_overflow 0
		.amdhsa_exception_fp_ieee_underflow 0
		.amdhsa_exception_fp_ieee_inexact 0
		.amdhsa_exception_int_div_zero 0
	.end_amdhsa_kernel
	.text
.Lfunc_end0:
	.size	fft_rtc_fwd_len169_factors_13_13_wgs_156_tpt_13_dp_op_CI_CI_sbrc_z_xy_unaligned_dirReg, .Lfunc_end0-fft_rtc_fwd_len169_factors_13_13_wgs_156_tpt_13_dp_op_CI_CI_sbrc_z_xy_unaligned_dirReg
                                        ; -- End function
	.section	.AMDGPU.csdata,"",@progbits
; Kernel info:
; codeLenInByte = 10708
; NumSgprs: 58
; NumVgprs: 176
; ScratchSize: 0
; MemoryBound: 0
; FloatMode: 240
; IeeeMode: 1
; LDSByteSize: 0 bytes/workgroup (compile time only)
; SGPRBlocks: 7
; VGPRBlocks: 43
; NumSGPRsForWavesPerEU: 58
; NumVGPRsForWavesPerEU: 176
; Occupancy: 1
; WaveLimiterHint : 1
; COMPUTE_PGM_RSRC2:SCRATCH_EN: 0
; COMPUTE_PGM_RSRC2:USER_SGPR: 6
; COMPUTE_PGM_RSRC2:TRAP_HANDLER: 0
; COMPUTE_PGM_RSRC2:TGID_X_EN: 1
; COMPUTE_PGM_RSRC2:TGID_Y_EN: 0
; COMPUTE_PGM_RSRC2:TGID_Z_EN: 0
; COMPUTE_PGM_RSRC2:TIDIG_COMP_CNT: 0
	.type	__hip_cuid_95a940a8fcc91473,@object ; @__hip_cuid_95a940a8fcc91473
	.section	.bss,"aw",@nobits
	.globl	__hip_cuid_95a940a8fcc91473
__hip_cuid_95a940a8fcc91473:
	.byte	0                               ; 0x0
	.size	__hip_cuid_95a940a8fcc91473, 1

	.ident	"AMD clang version 19.0.0git (https://github.com/RadeonOpenCompute/llvm-project roc-6.4.0 25133 c7fe45cf4b819c5991fe208aaa96edf142730f1d)"
	.section	".note.GNU-stack","",@progbits
	.addrsig
	.addrsig_sym __hip_cuid_95a940a8fcc91473
	.amdgpu_metadata
---
amdhsa.kernels:
  - .args:
      - .actual_access:  read_only
        .address_space:  global
        .offset:         0
        .size:           8
        .value_kind:     global_buffer
      - .offset:         8
        .size:           8
        .value_kind:     by_value
      - .actual_access:  read_only
        .address_space:  global
        .offset:         16
        .size:           8
        .value_kind:     global_buffer
      - .actual_access:  read_only
        .address_space:  global
        .offset:         24
        .size:           8
        .value_kind:     global_buffer
      - .actual_access:  read_only
        .address_space:  global
        .offset:         32
        .size:           8
        .value_kind:     global_buffer
      - .offset:         40
        .size:           8
        .value_kind:     by_value
      - .actual_access:  read_only
        .address_space:  global
        .offset:         48
        .size:           8
        .value_kind:     global_buffer
      - .actual_access:  read_only
        .address_space:  global
        .offset:         56
        .size:           8
        .value_kind:     global_buffer
      - .offset:         64
        .size:           4
        .value_kind:     by_value
      - .actual_access:  read_only
        .address_space:  global
        .offset:         72
        .size:           8
        .value_kind:     global_buffer
      - .actual_access:  read_only
        .address_space:  global
        .offset:         80
        .size:           8
        .value_kind:     global_buffer
      - .actual_access:  read_only
        .address_space:  global
        .offset:         88
        .size:           8
        .value_kind:     global_buffer
      - .actual_access:  write_only
        .address_space:  global
        .offset:         96
        .size:           8
        .value_kind:     global_buffer
    .group_segment_fixed_size: 0
    .kernarg_segment_align: 8
    .kernarg_segment_size: 104
    .language:       OpenCL C
    .language_version:
      - 2
      - 0
    .max_flat_workgroup_size: 156
    .name:           fft_rtc_fwd_len169_factors_13_13_wgs_156_tpt_13_dp_op_CI_CI_sbrc_z_xy_unaligned_dirReg
    .private_segment_fixed_size: 0
    .sgpr_count:     58
    .sgpr_spill_count: 0
    .symbol:         fft_rtc_fwd_len169_factors_13_13_wgs_156_tpt_13_dp_op_CI_CI_sbrc_z_xy_unaligned_dirReg.kd
    .uniform_work_group_size: 1
    .uses_dynamic_stack: false
    .vgpr_count:     176
    .vgpr_spill_count: 0
    .wavefront_size: 64
amdhsa.target:   amdgcn-amd-amdhsa--gfx906
amdhsa.version:
  - 1
  - 2
...

	.end_amdgpu_metadata
